;; amdgpu-corpus repo=ROCm/rocFFT kind=compiled arch=gfx906 opt=O3
	.text
	.amdgcn_target "amdgcn-amd-amdhsa--gfx906"
	.amdhsa_code_object_version 6
	.protected	fft_rtc_fwd_len832_factors_13_2_2_2_2_2_2_wgs_104_tpt_104_halfLds_dp_op_CI_CI_unitstride_sbrr_dirReg ; -- Begin function fft_rtc_fwd_len832_factors_13_2_2_2_2_2_2_wgs_104_tpt_104_halfLds_dp_op_CI_CI_unitstride_sbrr_dirReg
	.globl	fft_rtc_fwd_len832_factors_13_2_2_2_2_2_2_wgs_104_tpt_104_halfLds_dp_op_CI_CI_unitstride_sbrr_dirReg
	.p2align	8
	.type	fft_rtc_fwd_len832_factors_13_2_2_2_2_2_2_wgs_104_tpt_104_halfLds_dp_op_CI_CI_unitstride_sbrr_dirReg,@function
fft_rtc_fwd_len832_factors_13_2_2_2_2_2_2_wgs_104_tpt_104_halfLds_dp_op_CI_CI_unitstride_sbrr_dirReg: ; @fft_rtc_fwd_len832_factors_13_2_2_2_2_2_2_wgs_104_tpt_104_halfLds_dp_op_CI_CI_unitstride_sbrr_dirReg
; %bb.0:
	s_load_dwordx4 s[8:11], s[4:5], 0x58
	s_load_dwordx4 s[12:15], s[4:5], 0x0
	;; [unrolled: 1-line block ×3, first 2 shown]
	v_mul_u32_u24_e32 v1, 0x277, v0
	v_add_u32_sdwa v6, s6, v1 dst_sel:DWORD dst_unused:UNUSED_PAD src0_sel:DWORD src1_sel:WORD_1
	v_mov_b32_e32 v1, 0
	s_waitcnt lgkmcnt(0)
	v_cmp_lt_u64_e64 s[0:1], s[14:15], 2
	v_mov_b32_e32 v4, 0
	v_mov_b32_e32 v7, v1
	s_and_b64 vcc, exec, s[0:1]
	v_mov_b32_e32 v5, 0
	s_cbranch_vccnz .LBB0_8
; %bb.1:
	s_load_dwordx2 s[0:1], s[4:5], 0x10
	s_add_u32 s2, s18, 8
	s_addc_u32 s3, s19, 0
	s_add_u32 s6, s16, 8
	v_mov_b32_e32 v4, 0
	s_addc_u32 s7, s17, 0
	v_mov_b32_e32 v5, 0
	s_waitcnt lgkmcnt(0)
	s_add_u32 s20, s0, 8
	v_mov_b32_e32 v69, v5
	s_addc_u32 s21, s1, 0
	s_mov_b64 s[22:23], 1
	v_mov_b32_e32 v68, v4
.LBB0_2:                                ; =>This Inner Loop Header: Depth=1
	s_load_dwordx2 s[24:25], s[20:21], 0x0
                                        ; implicit-def: $vgpr70_vgpr71
	s_waitcnt lgkmcnt(0)
	v_or_b32_e32 v2, s25, v7
	v_cmp_ne_u64_e32 vcc, 0, v[1:2]
	s_and_saveexec_b64 s[0:1], vcc
	s_xor_b64 s[26:27], exec, s[0:1]
	s_cbranch_execz .LBB0_4
; %bb.3:                                ;   in Loop: Header=BB0_2 Depth=1
	v_cvt_f32_u32_e32 v2, s24
	v_cvt_f32_u32_e32 v3, s25
	s_sub_u32 s0, 0, s24
	s_subb_u32 s1, 0, s25
	v_mac_f32_e32 v2, 0x4f800000, v3
	v_rcp_f32_e32 v2, v2
	v_mul_f32_e32 v2, 0x5f7ffffc, v2
	v_mul_f32_e32 v3, 0x2f800000, v2
	v_trunc_f32_e32 v3, v3
	v_mac_f32_e32 v2, 0xcf800000, v3
	v_cvt_u32_f32_e32 v3, v3
	v_cvt_u32_f32_e32 v2, v2
	v_mul_lo_u32 v8, s0, v3
	v_mul_hi_u32 v9, s0, v2
	v_mul_lo_u32 v11, s1, v2
	v_mul_lo_u32 v10, s0, v2
	v_add_u32_e32 v8, v9, v8
	v_add_u32_e32 v8, v8, v11
	v_mul_hi_u32 v9, v2, v10
	v_mul_lo_u32 v11, v2, v8
	v_mul_hi_u32 v13, v2, v8
	v_mul_hi_u32 v12, v3, v10
	v_mul_lo_u32 v10, v3, v10
	v_mul_hi_u32 v14, v3, v8
	v_add_co_u32_e32 v9, vcc, v9, v11
	v_addc_co_u32_e32 v11, vcc, 0, v13, vcc
	v_mul_lo_u32 v8, v3, v8
	v_add_co_u32_e32 v9, vcc, v9, v10
	v_addc_co_u32_e32 v9, vcc, v11, v12, vcc
	v_addc_co_u32_e32 v10, vcc, 0, v14, vcc
	v_add_co_u32_e32 v8, vcc, v9, v8
	v_addc_co_u32_e32 v9, vcc, 0, v10, vcc
	v_add_co_u32_e32 v2, vcc, v2, v8
	v_addc_co_u32_e32 v3, vcc, v3, v9, vcc
	v_mul_lo_u32 v8, s0, v3
	v_mul_hi_u32 v9, s0, v2
	v_mul_lo_u32 v10, s1, v2
	v_mul_lo_u32 v11, s0, v2
	v_add_u32_e32 v8, v9, v8
	v_add_u32_e32 v8, v8, v10
	v_mul_lo_u32 v12, v2, v8
	v_mul_hi_u32 v13, v2, v11
	v_mul_hi_u32 v14, v2, v8
	v_mul_hi_u32 v10, v3, v11
	v_mul_lo_u32 v11, v3, v11
	v_mul_hi_u32 v9, v3, v8
	v_add_co_u32_e32 v12, vcc, v13, v12
	v_addc_co_u32_e32 v13, vcc, 0, v14, vcc
	v_mul_lo_u32 v8, v3, v8
	v_add_co_u32_e32 v11, vcc, v12, v11
	v_addc_co_u32_e32 v10, vcc, v13, v10, vcc
	v_addc_co_u32_e32 v9, vcc, 0, v9, vcc
	v_add_co_u32_e32 v8, vcc, v10, v8
	v_addc_co_u32_e32 v9, vcc, 0, v9, vcc
	v_add_co_u32_e32 v8, vcc, v2, v8
	v_addc_co_u32_e32 v9, vcc, v3, v9, vcc
	v_mad_u64_u32 v[2:3], s[0:1], v6, v9, 0
	v_mul_hi_u32 v10, v6, v8
	v_add_co_u32_e32 v10, vcc, v10, v2
	v_addc_co_u32_e32 v11, vcc, 0, v3, vcc
	v_mad_u64_u32 v[2:3], s[0:1], v7, v8, 0
	v_mad_u64_u32 v[8:9], s[0:1], v7, v9, 0
	v_add_co_u32_e32 v2, vcc, v10, v2
	v_addc_co_u32_e32 v2, vcc, v11, v3, vcc
	v_addc_co_u32_e32 v3, vcc, 0, v9, vcc
	v_add_co_u32_e32 v8, vcc, v2, v8
	v_addc_co_u32_e32 v9, vcc, 0, v3, vcc
	v_mul_lo_u32 v10, s25, v8
	v_mul_lo_u32 v11, s24, v9
	v_mad_u64_u32 v[2:3], s[0:1], s24, v8, 0
	v_add3_u32 v3, v3, v11, v10
	v_sub_u32_e32 v10, v7, v3
	v_mov_b32_e32 v11, s25
	v_sub_co_u32_e32 v2, vcc, v6, v2
	v_subb_co_u32_e64 v10, s[0:1], v10, v11, vcc
	v_subrev_co_u32_e64 v11, s[0:1], s24, v2
	v_subbrev_co_u32_e64 v10, s[0:1], 0, v10, s[0:1]
	v_cmp_le_u32_e64 s[0:1], s25, v10
	v_cndmask_b32_e64 v12, 0, -1, s[0:1]
	v_cmp_le_u32_e64 s[0:1], s24, v11
	v_cndmask_b32_e64 v11, 0, -1, s[0:1]
	v_cmp_eq_u32_e64 s[0:1], s25, v10
	v_cndmask_b32_e64 v10, v12, v11, s[0:1]
	v_add_co_u32_e64 v11, s[0:1], 2, v8
	v_addc_co_u32_e64 v12, s[0:1], 0, v9, s[0:1]
	v_add_co_u32_e64 v13, s[0:1], 1, v8
	v_addc_co_u32_e64 v14, s[0:1], 0, v9, s[0:1]
	v_subb_co_u32_e32 v3, vcc, v7, v3, vcc
	v_cmp_ne_u32_e64 s[0:1], 0, v10
	v_cmp_le_u32_e32 vcc, s25, v3
	v_cndmask_b32_e64 v10, v14, v12, s[0:1]
	v_cndmask_b32_e64 v12, 0, -1, vcc
	v_cmp_le_u32_e32 vcc, s24, v2
	v_cndmask_b32_e64 v2, 0, -1, vcc
	v_cmp_eq_u32_e32 vcc, s25, v3
	v_cndmask_b32_e32 v2, v12, v2, vcc
	v_cmp_ne_u32_e32 vcc, 0, v2
	v_cndmask_b32_e64 v2, v13, v11, s[0:1]
	v_cndmask_b32_e32 v71, v9, v10, vcc
	v_cndmask_b32_e32 v70, v8, v2, vcc
.LBB0_4:                                ;   in Loop: Header=BB0_2 Depth=1
	s_andn2_saveexec_b64 s[0:1], s[26:27]
	s_cbranch_execz .LBB0_6
; %bb.5:                                ;   in Loop: Header=BB0_2 Depth=1
	v_cvt_f32_u32_e32 v2, s24
	s_sub_i32 s26, 0, s24
	v_mov_b32_e32 v71, v1
	v_rcp_iflag_f32_e32 v2, v2
	v_mul_f32_e32 v2, 0x4f7ffffe, v2
	v_cvt_u32_f32_e32 v2, v2
	v_mul_lo_u32 v3, s26, v2
	v_mul_hi_u32 v3, v2, v3
	v_add_u32_e32 v2, v2, v3
	v_mul_hi_u32 v2, v6, v2
	v_mul_lo_u32 v3, v2, s24
	v_add_u32_e32 v8, 1, v2
	v_sub_u32_e32 v3, v6, v3
	v_subrev_u32_e32 v9, s24, v3
	v_cmp_le_u32_e32 vcc, s24, v3
	v_cndmask_b32_e32 v3, v3, v9, vcc
	v_cndmask_b32_e32 v2, v2, v8, vcc
	v_add_u32_e32 v8, 1, v2
	v_cmp_le_u32_e32 vcc, s24, v3
	v_cndmask_b32_e32 v70, v2, v8, vcc
.LBB0_6:                                ;   in Loop: Header=BB0_2 Depth=1
	s_or_b64 exec, exec, s[0:1]
	v_mul_lo_u32 v8, v71, s24
	v_mul_lo_u32 v9, v70, s25
	v_mad_u64_u32 v[2:3], s[0:1], v70, s24, 0
	s_load_dwordx2 s[0:1], s[6:7], 0x0
	s_load_dwordx2 s[24:25], s[2:3], 0x0
	v_add3_u32 v3, v3, v9, v8
	v_sub_co_u32_e32 v2, vcc, v6, v2
	v_subb_co_u32_e32 v3, vcc, v7, v3, vcc
	s_waitcnt lgkmcnt(0)
	v_mul_lo_u32 v6, s0, v3
	v_mul_lo_u32 v7, s1, v2
	v_mad_u64_u32 v[4:5], s[0:1], s0, v2, v[4:5]
	v_mul_lo_u32 v3, s24, v3
	v_mul_lo_u32 v8, s25, v2
	v_mad_u64_u32 v[68:69], s[0:1], s24, v2, v[68:69]
	s_add_u32 s22, s22, 1
	s_addc_u32 s23, s23, 0
	s_add_u32 s2, s2, 8
	v_add3_u32 v69, v8, v69, v3
	s_addc_u32 s3, s3, 0
	v_mov_b32_e32 v2, s14
	s_add_u32 s6, s6, 8
	v_mov_b32_e32 v3, s15
	s_addc_u32 s7, s7, 0
	v_cmp_ge_u64_e32 vcc, s[22:23], v[2:3]
	s_add_u32 s20, s20, 8
	v_add3_u32 v5, v7, v5, v6
	s_addc_u32 s21, s21, 0
	s_cbranch_vccnz .LBB0_9
; %bb.7:                                ;   in Loop: Header=BB0_2 Depth=1
	v_mov_b32_e32 v6, v70
	v_mov_b32_e32 v7, v71
	s_branch .LBB0_2
.LBB0_8:
	v_mov_b32_e32 v69, v5
	v_mov_b32_e32 v71, v7
	;; [unrolled: 1-line block ×4, first 2 shown]
.LBB0_9:
	s_load_dwordx2 s[0:1], s[4:5], 0x28
	s_mov_b32 s4, 0x2762763
	v_mul_hi_u32 v1, v0, s4
	s_lshl_b64 s[2:3], s[14:15], 3
	s_add_u32 s4, s18, s2
	s_waitcnt lgkmcnt(0)
	v_cmp_gt_u64_e32 vcc, s[0:1], v[70:71]
	v_mul_u32_u24_e32 v1, 0x68, v1
	v_sub_u32_e32 v72, v0, v1
	v_cmp_gt_u32_e64 s[0:1], 64, v72
	s_addc_u32 s5, s19, s3
	s_and_b64 s[14:15], vcc, s[0:1]
                                        ; implicit-def: $vgpr34_vgpr35
                                        ; implicit-def: $vgpr38_vgpr39
                                        ; implicit-def: $vgpr26_vgpr27
                                        ; implicit-def: $vgpr18_vgpr19
                                        ; implicit-def: $vgpr10_vgpr11
                                        ; implicit-def: $vgpr2_vgpr3
                                        ; implicit-def: $vgpr6_vgpr7
                                        ; implicit-def: $vgpr14_vgpr15
                                        ; implicit-def: $vgpr22_vgpr23
                                        ; implicit-def: $vgpr30_vgpr31
                                        ; implicit-def: $vgpr46_vgpr47
                                        ; implicit-def: $vgpr50_vgpr51
                                        ; implicit-def: $vgpr42_vgpr43
	s_and_saveexec_b64 s[6:7], s[14:15]
	s_cbranch_execz .LBB0_11
; %bb.10:
	s_add_u32 s2, s16, s2
	s_addc_u32 s3, s17, s3
	s_load_dwordx2 s[2:3], s[2:3], 0x0
	v_mov_b32_e32 v6, s9
	v_mov_b32_e32 v73, 0
	s_waitcnt lgkmcnt(0)
	v_mul_lo_u32 v2, s3, v70
	v_mul_lo_u32 v3, s2, v71
	v_mad_u64_u32 v[0:1], s[2:3], s2, v70, 0
	v_add3_u32 v1, v1, v3, v2
	v_lshlrev_b64 v[0:1], 4, v[0:1]
	v_add_co_u32_e64 v2, s[2:3], s8, v0
	v_addc_co_u32_e64 v3, s[2:3], v6, v1, s[2:3]
	v_lshlrev_b64 v[0:1], 4, v[4:5]
	v_add_co_u32_e64 v2, s[2:3], v2, v0
	v_addc_co_u32_e64 v3, s[2:3], v3, v1, s[2:3]
	;; [unrolled: 3-line block ×3, first 2 shown]
	v_or_b32_e32 v0, 0x100, v72
	v_mov_b32_e32 v1, v73
	v_lshlrev_b64 v[0:1], 4, v[0:1]
	v_add_co_u32_e64 v54, s[2:3], v2, v0
	v_addc_co_u32_e64 v55, s[2:3], v3, v1, s[2:3]
	v_or_b32_e32 v0, 0x140, v72
	v_mov_b32_e32 v1, v73
	v_lshlrev_b64 v[0:1], 4, v[0:1]
	v_add_co_u32_e64 v56, s[2:3], v2, v0
	v_addc_co_u32_e64 v57, s[2:3], v3, v1, s[2:3]
	;; [unrolled: 5-line block ×9, first 2 shown]
	global_load_dwordx4 v[40:43], v[52:53], off
	global_load_dwordx4 v[48:51], v[52:53], off offset:1024
	global_load_dwordx4 v[44:47], v[52:53], off offset:2048
	;; [unrolled: 1-line block ×3, first 2 shown]
	global_load_dwordx4 v[20:23], v[54:55], off
	global_load_dwordx4 v[12:15], v[56:57], off
	;; [unrolled: 1-line block ×9, first 2 shown]
.LBB0_11:
	s_or_b64 exec, exec, s[6:7]
	s_and_saveexec_b64 s[2:3], s[0:1]
	s_cbranch_execz .LBB0_13
; %bb.12:
	s_waitcnt vmcnt(0)
	v_add_f64 v[95:96], v[50:51], -v[34:35]
	s_mov_b32 s30, 0x4bc48dbf
	s_mov_b32 s31, 0xbfcea1e5
	v_add_f64 v[93:94], v[46:47], -v[38:39]
	v_add_f64 v[87:88], v[32:33], v[48:49]
	s_mov_b32 s28, 0x93053d00
	s_mov_b32 s23, 0x3fddbe06
	;; [unrolled: 1-line block ×3, first 2 shown]
	v_mul_f64 v[101:102], v[95:96], s[30:31]
	s_mov_b32 s29, 0xbfef11f4
	v_add_f64 v[91:92], v[30:31], -v[26:27]
	v_add_f64 v[83:84], v[36:37], v[44:45]
	v_mul_f64 v[97:98], v[93:94], s[22:23]
	s_mov_b32 s24, 0x24c2f84
	s_mov_b32 s20, 0xe00740e9
	;; [unrolled: 1-line block ×3, first 2 shown]
	v_fma_f64 v[103:104], v[87:88], s[28:29], v[101:102]
	s_mov_b32 s21, 0x3fec55a7
	v_add_f64 v[89:90], v[22:23], -v[18:19]
	v_add_f64 v[81:82], v[24:25], v[28:29]
	v_mul_f64 v[64:65], v[91:92], s[24:25]
	v_fma_f64 v[99:100], v[83:84], s[20:21], v[97:98]
	s_mov_b32 s36, 0x42a4c3d2
	s_mov_b32 s16, 0xd0032e0c
	v_add_f64 v[103:104], v[40:41], v[103:104]
	s_mov_b32 s37, 0x3fea55e2
	s_mov_b32 s17, 0xbfe7f3cc
	v_add_f64 v[85:86], v[14:15], -v[10:11]
	v_add_f64 v[79:80], v[16:17], v[20:21]
	v_mul_f64 v[60:61], v[89:90], s[36:37]
	v_fma_f64 v[66:67], v[81:82], s[16:17], v[64:65]
	s_mov_b32 s18, 0x2ef20147
	v_add_f64 v[99:100], v[99:100], v[103:104]
	s_mov_b32 s14, 0x1ea71119
	s_mov_b32 s19, 0xbfedeba7
	;; [unrolled: 1-line block ×3, first 2 shown]
	v_add_f64 v[73:74], v[6:7], -v[2:3]
	v_add_f64 v[77:78], v[8:9], v[12:13]
	v_mul_f64 v[56:57], v[85:86], s[18:19]
	v_fma_f64 v[62:63], v[79:80], s[14:15], v[60:61]
	v_add_f64 v[66:67], v[66:67], v[99:100]
	s_mov_b32 s26, 0x66966769
	s_mov_b32 s8, 0xb2365da1
	;; [unrolled: 1-line block ×4, first 2 shown]
	v_add_f64 v[75:76], v[0:1], v[4:5]
	v_mul_f64 v[54:55], v[73:74], s[26:27]
	v_fma_f64 v[58:59], v[77:78], s[8:9], v[56:57]
	v_add_f64 v[62:63], v[62:63], v[66:67]
	s_mov_b32 s6, 0xebaa3ed8
	s_mov_b32 s7, 0x3fbedb7d
	v_mul_f64 v[105:106], v[95:96], s[24:25]
	s_mov_b32 s35, 0xbfea55e2
	s_mov_b32 s34, s36
	v_fma_f64 v[52:53], v[75:76], s[6:7], v[54:55]
	s_mov_b32 s39, 0x3fcea1e5
	v_add_f64 v[58:59], v[58:59], v[62:63]
	v_fma_f64 v[62:63], v[83:84], s[20:21], -v[97:98]
	v_mul_f64 v[97:98], v[91:92], s[34:35]
	v_fma_f64 v[107:108], v[87:88], s[16:17], v[105:106]
	s_mov_b32 s38, s30
	v_fma_f64 v[56:57], v[77:78], s[8:9], -v[56:57]
	v_fma_f64 v[54:55], v[75:76], s[6:7], -v[54:55]
	v_mul_f64 v[109:110], v[95:96], s[18:19]
	v_add_f64 v[52:53], v[52:53], v[58:59]
	v_fma_f64 v[58:59], v[79:80], s[14:15], -v[60:61]
	v_fma_f64 v[60:61], v[81:82], s[16:17], -v[64:65]
	;; [unrolled: 1-line block ×3, first 2 shown]
	v_mul_f64 v[101:102], v[93:94], s[26:27]
	v_add_f64 v[107:108], v[40:41], v[107:108]
	v_fma_f64 v[99:100], v[81:82], s[14:15], v[97:98]
	v_fma_f64 v[111:112], v[87:88], s[8:9], v[109:110]
	s_mov_b32 s41, 0x3fedeba7
	s_mov_b32 s40, s18
	v_mul_f64 v[117:118], v[95:96], s[34:35]
	v_add_f64 v[64:65], v[40:41], v[64:65]
	v_fma_f64 v[103:104], v[83:84], s[6:7], v[101:102]
	v_add_f64 v[111:112], v[40:41], v[111:112]
	v_fma_f64 v[119:120], v[87:88], s[14:15], v[117:118]
	v_add_f64 v[62:63], v[62:63], v[64:65]
	v_mul_f64 v[64:65], v[89:90], s[38:39]
	v_add_f64 v[103:104], v[103:104], v[107:108]
	v_add_f64 v[119:120], v[40:41], v[119:120]
	;; [unrolled: 1-line block ×3, first 2 shown]
	v_fma_f64 v[66:67], v[79:80], s[28:29], v[64:65]
	v_add_f64 v[99:100], v[99:100], v[103:104]
	v_add_f64 v[58:59], v[58:59], v[60:61]
	v_mul_f64 v[60:61], v[85:86], s[22:23]
	v_add_f64 v[66:67], v[66:67], v[99:100]
	v_add_f64 v[56:57], v[56:57], v[58:59]
	v_mul_f64 v[58:59], v[73:74], s[18:19]
	v_fma_f64 v[62:63], v[77:78], s[20:21], v[60:61]
	v_fma_f64 v[60:61], v[77:78], s[20:21], -v[60:61]
	v_add_f64 v[54:55], v[54:55], v[56:57]
	v_fma_f64 v[56:57], v[75:76], s[8:9], v[58:59]
	v_add_f64 v[62:63], v[62:63], v[66:67]
	v_fma_f64 v[66:67], v[83:84], s[6:7], -v[101:102]
	v_mul_f64 v[101:102], v[91:92], s[22:23]
	v_fma_f64 v[58:59], v[75:76], s[8:9], -v[58:59]
	v_add_f64 v[56:57], v[56:57], v[62:63]
	v_fma_f64 v[62:63], v[79:80], s[28:29], -v[64:65]
	v_fma_f64 v[64:65], v[81:82], s[14:15], -v[97:98]
	;; [unrolled: 1-line block ×3, first 2 shown]
	v_fma_f64 v[103:104], v[81:82], s[20:21], v[101:102]
	v_add_f64 v[97:98], v[40:41], v[97:98]
	v_add_f64 v[66:67], v[66:67], v[97:98]
	;; [unrolled: 1-line block ×4, first 2 shown]
	v_mul_f64 v[64:65], v[85:86], s[38:39]
	s_mov_b32 s39, 0x3fe5384d
	s_mov_b32 s38, s24
	v_mul_f64 v[105:106], v[93:94], s[38:39]
	v_add_f64 v[60:61], v[60:61], v[62:63]
	v_mul_f64 v[62:63], v[73:74], s[36:37]
	s_mov_b32 s37, 0xbfefc445
	s_mov_b32 s36, s26
	v_fma_f64 v[107:108], v[83:84], s[16:17], v[105:106]
	v_mul_f64 v[97:98], v[89:90], s[36:37]
	v_fma_f64 v[66:67], v[77:78], s[28:29], v[64:65]
	v_mul_f64 v[113:114], v[95:96], s[36:37]
	v_add_f64 v[58:59], v[58:59], v[60:61]
	v_fma_f64 v[60:61], v[75:76], s[14:15], v[62:63]
	v_fma_f64 v[64:65], v[77:78], s[28:29], -v[64:65]
	v_fma_f64 v[62:63], v[75:76], s[14:15], -v[62:63]
	v_add_f64 v[107:108], v[107:108], v[111:112]
	v_fma_f64 v[99:100], v[79:80], s[6:7], v[97:98]
	v_fma_f64 v[115:116], v[87:88], s[6:7], v[113:114]
	v_add_f64 v[103:104], v[103:104], v[107:108]
	v_add_f64 v[115:116], v[40:41], v[115:116]
	;; [unrolled: 1-line block ×4, first 2 shown]
	v_fma_f64 v[99:100], v[83:84], s[16:17], -v[105:106]
	v_mul_f64 v[105:106], v[91:92], s[40:41]
	v_add_f64 v[60:61], v[60:61], v[66:67]
	v_fma_f64 v[66:67], v[79:80], s[6:7], -v[97:98]
	v_fma_f64 v[97:98], v[81:82], s[20:21], -v[101:102]
	;; [unrolled: 1-line block ×3, first 2 shown]
	v_mul_f64 v[109:110], v[93:94], s[30:31]
	v_fma_f64 v[107:108], v[81:82], s[8:9], v[105:106]
	v_add_f64 v[101:102], v[40:41], v[101:102]
	v_fma_f64 v[111:112], v[83:84], s[28:29], v[109:110]
	v_add_f64 v[99:100], v[99:100], v[101:102]
	v_mul_f64 v[101:102], v[89:90], s[22:23]
	v_add_f64 v[111:112], v[111:112], v[115:116]
	v_add_f64 v[97:98], v[97:98], v[99:100]
	v_fma_f64 v[103:104], v[79:80], s[20:21], v[101:102]
	v_add_f64 v[107:108], v[107:108], v[111:112]
	v_add_f64 v[66:67], v[66:67], v[97:98]
	v_mul_f64 v[97:98], v[85:86], s[34:35]
	v_add_f64 v[103:104], v[103:104], v[107:108]
	v_add_f64 v[64:65], v[64:65], v[66:67]
	v_mul_f64 v[66:67], v[73:74], s[24:25]
	v_fma_f64 v[99:100], v[77:78], s[14:15], v[97:98]
	v_fma_f64 v[97:98], v[77:78], s[14:15], -v[97:98]
	v_add_f64 v[62:63], v[62:63], v[64:65]
	v_fma_f64 v[64:65], v[75:76], s[16:17], v[66:67]
	v_add_f64 v[99:100], v[99:100], v[103:104]
	v_fma_f64 v[103:104], v[83:84], s[28:29], -v[109:110]
	v_mul_f64 v[109:110], v[91:92], s[30:31]
	v_fma_f64 v[66:67], v[75:76], s[16:17], -v[66:67]
	v_mul_f64 v[91:92], v[91:92], s[36:37]
	v_add_f64 v[64:65], v[64:65], v[99:100]
	v_fma_f64 v[99:100], v[79:80], s[20:21], -v[101:102]
	v_fma_f64 v[101:102], v[81:82], s[8:9], -v[105:106]
	;; [unrolled: 1-line block ×3, first 2 shown]
	v_mul_f64 v[113:114], v[93:94], s[18:19]
	v_fma_f64 v[111:112], v[81:82], s[28:29], v[109:110]
	v_mul_f64 v[93:94], v[93:94], s[34:35]
	v_add_f64 v[105:106], v[40:41], v[105:106]
	v_fma_f64 v[115:116], v[83:84], s[8:9], v[113:114]
	v_add_f64 v[103:104], v[103:104], v[105:106]
	v_mul_f64 v[105:106], v[89:90], s[38:39]
	v_add_f64 v[115:116], v[115:116], v[119:120]
	v_mul_f64 v[89:90], v[89:90], s[18:19]
	v_add_f64 v[101:102], v[101:102], v[103:104]
	v_fma_f64 v[107:108], v[79:80], s[16:17], v[105:106]
	v_add_f64 v[111:112], v[111:112], v[115:116]
	v_add_f64 v[99:100], v[99:100], v[101:102]
	v_mul_f64 v[101:102], v[85:86], s[26:27]
	v_add_f64 v[107:108], v[107:108], v[111:112]
	v_mul_f64 v[85:86], v[85:86], s[24:25]
	;; [unrolled: 2-line block ×3, first 2 shown]
	v_fma_f64 v[103:104], v[77:78], s[6:7], v[101:102]
	s_mov_b32 s23, 0xbfddbe06
	v_fma_f64 v[101:102], v[77:78], s[6:7], -v[101:102]
	v_mul_f64 v[95:96], v[95:96], s[22:23]
	v_add_f64 v[97:98], v[66:67], v[97:98]
	v_fma_f64 v[66:67], v[75:76], s[20:21], v[99:100]
	v_add_f64 v[103:104], v[103:104], v[107:108]
	v_fma_f64 v[107:108], v[83:84], s[8:9], -v[113:114]
	v_fma_f64 v[99:100], v[75:76], s[20:21], -v[99:100]
	v_fma_f64 v[111:112], v[87:88], s[20:21], v[95:96]
	v_add_f64 v[66:67], v[66:67], v[103:104]
	v_fma_f64 v[103:104], v[79:80], s[16:17], -v[105:106]
	v_fma_f64 v[105:106], v[81:82], s[28:29], -v[109:110]
	;; [unrolled: 1-line block ×3, first 2 shown]
	v_add_f64 v[111:112], v[40:41], v[111:112]
	v_add_f64 v[109:110], v[40:41], v[109:110]
	;; [unrolled: 1-line block ×3, first 2 shown]
	v_fma_f64 v[109:110], v[83:84], s[14:15], v[93:94]
	v_fma_f64 v[83:84], v[83:84], s[14:15], -v[93:94]
	v_add_f64 v[105:106], v[105:106], v[107:108]
	v_fma_f64 v[107:108], v[81:82], s[6:7], v[91:92]
	v_fma_f64 v[81:82], v[81:82], s[6:7], -v[91:92]
	v_add_f64 v[109:110], v[109:110], v[111:112]
	s_movk_i32 s6, 0x68
	v_add_f64 v[103:104], v[103:104], v[105:106]
	v_fma_f64 v[105:106], v[79:80], s[8:9], v[89:90]
	v_fma_f64 v[79:80], v[79:80], s[8:9], -v[89:90]
	v_add_f64 v[107:108], v[107:108], v[109:110]
	v_add_f64 v[101:102], v[101:102], v[103:104]
	v_fma_f64 v[103:104], v[77:78], s[16:17], v[85:86]
	v_fma_f64 v[77:78], v[77:78], s[16:17], -v[85:86]
	v_fma_f64 v[85:86], v[87:88], s[20:21], -v[95:96]
	v_add_f64 v[105:106], v[105:106], v[107:108]
	v_add_f64 v[99:100], v[99:100], v[101:102]
	v_mul_f64 v[101:102], v[73:74], s[30:31]
	v_add_f64 v[85:86], v[40:41], v[85:86]
	v_add_f64 v[40:41], v[48:49], v[40:41]
	;; [unrolled: 1-line block ×3, first 2 shown]
	v_fma_f64 v[73:74], v[75:76], s[28:29], v[101:102]
	v_fma_f64 v[75:76], v[75:76], s[28:29], -v[101:102]
	v_add_f64 v[83:84], v[83:84], v[85:86]
	v_add_f64 v[40:41], v[44:45], v[40:41]
	;; [unrolled: 1-line block ×11, first 2 shown]
	v_mad_u32_u24 v77, v72, s6, 0
	v_add_f64 v[40:41], v[0:1], v[40:41]
	v_add_f64 v[40:41], v[8:9], v[40:41]
	;; [unrolled: 1-line block ×6, first 2 shown]
	ds_write2_b64 v77, v[40:41], v[75:76] offset1:1
	ds_write2_b64 v77, v[99:100], v[97:98] offset0:2 offset1:3
	ds_write2_b64 v77, v[62:63], v[58:59] offset0:4 offset1:5
	;; [unrolled: 1-line block ×5, first 2 shown]
	ds_write_b64 v77, v[73:74] offset:96
.LBB0_13:
	s_or_b64 exec, exec, s[2:3]
	s_waitcnt vmcnt(12)
	v_lshl_add_u32 v40, v72, 3, 0
	v_add_u32_e32 v41, 0xc00, v40
	v_add_u32_e32 v74, 0x400, v40
	;; [unrolled: 1-line block ×3, first 2 shown]
	s_waitcnt vmcnt(0) lgkmcnt(0)
	s_barrier
	ds_read2_b64 v[52:55], v40 offset1:104
	ds_read2_b64 v[60:63], v41 offset0:32 offset1:136
	ds_read2_b64 v[56:59], v74 offset0:80 offset1:184
	;; [unrolled: 1-line block ×3, first 2 shown]
	s_waitcnt lgkmcnt(0)
	s_barrier
	s_and_saveexec_b64 s[2:3], s[0:1]
	s_cbranch_execz .LBB0_15
; %bb.14:
	v_add_f64 v[76:77], v[50:51], v[42:43]
	v_add_f64 v[32:33], v[48:49], -v[32:33]
	v_add_f64 v[36:37], v[44:45], -v[36:37]
	s_mov_b32 s24, 0x42a4c3d2
	s_mov_b32 s25, 0xbfea55e2
	v_add_f64 v[50:51], v[34:35], v[50:51]
	s_mov_b32 s0, 0x1ea71119
	s_mov_b32 s34, 0x66966769
	v_add_f64 v[48:49], v[46:47], v[76:77]
	v_mul_f64 v[76:77], v[32:33], s[24:25]
	s_mov_b32 s20, 0x2ef20147
	s_mov_b32 s22, 0x24c2f84
	;; [unrolled: 1-line block ×6, first 2 shown]
	v_add_f64 v[48:49], v[30:31], v[48:49]
	s_mov_b32 s21, 0xbfedeba7
	s_mov_b32 s23, 0xbfe5384d
	v_add_f64 v[46:47], v[38:39], v[46:47]
	v_mul_f64 v[78:79], v[32:33], s[34:35]
	v_mul_f64 v[80:81], v[32:33], s[20:21]
	;; [unrolled: 1-line block ×4, first 2 shown]
	v_add_f64 v[48:49], v[22:23], v[48:49]
	v_fma_f64 v[96:97], v[50:51], s[0:1], v[76:77]
	v_fma_f64 v[76:77], v[50:51], s[0:1], -v[76:77]
	s_mov_b32 s8, 0xe00740e9
	s_mov_b32 s6, 0xebaa3ed8
	;; [unrolled: 1-line block ×5, first 2 shown]
	v_add_f64 v[44:45], v[14:15], v[48:49]
	v_mul_f64 v[48:49], v[32:33], s[16:17]
	s_mov_b32 s9, 0x3fec55a7
	s_mov_b32 s7, 0x3fbedb7d
	;; [unrolled: 1-line block ×6, first 2 shown]
	v_add_f64 v[44:45], v[6:7], v[44:45]
	s_mov_b32 s27, 0x3fefc445
	s_mov_b32 s36, s22
	;; [unrolled: 1-line block ×3, first 2 shown]
	v_mul_f64 v[32:33], v[32:33], s[30:31]
	v_mul_f64 v[84:85], v[36:37], s[24:25]
	;; [unrolled: 1-line block ×4, first 2 shown]
	v_add_f64 v[44:45], v[2:3], v[44:45]
	v_mul_f64 v[92:93], v[36:37], s[26:27]
	v_fma_f64 v[94:95], v[50:51], s[8:9], v[48:49]
	v_fma_f64 v[48:49], v[50:51], s[8:9], -v[48:49]
	v_fma_f64 v[98:99], v[50:51], s[6:7], v[78:79]
	v_fma_f64 v[78:79], v[50:51], s[6:7], -v[78:79]
	;; [unrolled: 2-line block ×3, first 2 shown]
	v_add_f64 v[44:45], v[10:11], v[44:45]
	v_fma_f64 v[102:103], v[50:51], s[18:19], v[82:83]
	v_fma_f64 v[106:107], v[46:47], s[14:15], v[86:87]
	v_fma_f64 v[86:87], v[46:47], s[14:15], -v[86:87]
	v_add_f64 v[76:77], v[42:43], v[76:77]
	v_add_f64 v[24:25], v[28:29], -v[24:25]
	s_mov_b32 s28, 0x93053d00
	s_mov_b32 s29, 0xbfef11f4
	v_add_f64 v[44:45], v[18:19], v[44:45]
	s_mov_b32 s17, 0x3fddbe06
	v_fma_f64 v[82:83], v[50:51], s[18:19], -v[82:83]
	v_fma_f64 v[104:105], v[50:51], s[28:29], v[32:33]
	v_fma_f64 v[32:33], v[50:51], s[28:29], -v[32:33]
	v_fma_f64 v[50:51], v[46:47], s[0:1], v[84:85]
	v_fma_f64 v[84:85], v[46:47], s[0:1], -v[84:85]
	v_fma_f64 v[108:109], v[46:47], s[28:29], v[88:89]
	v_add_f64 v[44:45], v[26:27], v[44:45]
	v_add_f64 v[48:49], v[42:43], v[48:49]
	;; [unrolled: 1-line block ×7, first 2 shown]
	v_fma_f64 v[86:87], v[46:47], s[18:19], v[90:91]
	v_add_f64 v[38:39], v[38:39], v[44:45]
	v_mul_f64 v[28:29], v[36:37], s[16:17]
	v_add_f64 v[26:27], v[26:27], v[30:31]
	v_mul_f64 v[30:31], v[24:25], s[34:35]
	s_mov_b32 s39, 0x3fedeba7
	s_mov_b32 s38, s20
	v_add_f64 v[94:95], v[42:43], v[94:95]
	v_add_f64 v[82:83], v[42:43], v[82:83]
	;; [unrolled: 1-line block ×3, first 2 shown]
	v_fma_f64 v[38:39], v[46:47], s[28:29], -v[88:89]
	v_fma_f64 v[88:89], v[46:47], s[18:19], -v[90:91]
	v_fma_f64 v[90:91], v[46:47], s[6:7], v[92:93]
	v_add_f64 v[32:33], v[42:43], v[32:33]
	v_add_f64 v[48:49], v[84:85], v[48:49]
	v_fma_f64 v[92:93], v[46:47], s[6:7], -v[92:93]
	v_add_f64 v[96:97], v[42:43], v[96:97]
	v_add_f64 v[98:99], v[42:43], v[98:99]
	v_add_f64 v[36:37], v[38:39], v[78:79]
	v_add_f64 v[38:39], v[86:87], v[100:101]
	v_add_f64 v[78:79], v[88:89], v[80:81]
	v_add_f64 v[80:81], v[90:91], v[102:103]
	v_fma_f64 v[86:87], v[46:47], s[8:9], v[28:29]
	v_fma_f64 v[28:29], v[46:47], s[8:9], -v[28:29]
	v_mul_f64 v[88:89], v[24:25], s[38:39]
	v_fma_f64 v[90:91], v[26:27], s[6:7], v[30:31]
	v_fma_f64 v[30:31], v[26:27], s[6:7], -v[30:31]
	v_add_f64 v[44:45], v[42:43], v[104:105]
	v_add_f64 v[42:43], v[50:51], v[94:95]
	;; [unrolled: 1-line block ×3, first 2 shown]
	v_mul_f64 v[46:47], v[24:25], s[30:31]
	v_add_f64 v[28:29], v[28:29], v[32:33]
	v_mul_f64 v[32:33], v[24:25], s[16:17]
	v_fma_f64 v[92:93], v[26:27], s[14:15], v[88:89]
	v_add_f64 v[30:31], v[30:31], v[48:49]
	v_fma_f64 v[48:49], v[26:27], s[14:15], -v[88:89]
	v_mul_f64 v[88:89], v[24:25], s[24:25]
	v_add_f64 v[84:85], v[108:109], v[98:99]
	v_add_f64 v[44:45], v[86:87], v[44:45]
	v_fma_f64 v[86:87], v[26:27], s[28:29], v[46:47]
	v_fma_f64 v[46:47], v[26:27], s[28:29], -v[46:47]
	v_add_f64 v[42:43], v[90:91], v[42:43]
	v_fma_f64 v[90:91], v[26:27], s[8:9], v[32:33]
	v_add_f64 v[16:17], v[20:21], -v[16:17]
	v_fma_f64 v[20:21], v[26:27], s[8:9], -v[32:33]
	v_add_f64 v[32:33], v[48:49], v[36:37]
	v_fma_f64 v[36:37], v[26:27], s[0:1], v[88:89]
	v_mul_f64 v[24:25], v[24:25], s[22:23]
	v_add_f64 v[50:51], v[106:107], v[96:97]
	v_add_f64 v[46:47], v[46:47], v[76:77]
	;; [unrolled: 1-line block ×3, first 2 shown]
	v_fma_f64 v[48:49], v[26:27], s[0:1], -v[88:89]
	v_add_f64 v[18:19], v[18:19], v[22:23]
	v_mul_f64 v[22:23], v[16:17], s[20:21]
	v_add_f64 v[20:21], v[20:21], v[78:79]
	v_mul_f64 v[78:79], v[16:17], s[36:37]
	;; [unrolled: 2-line block ×3, first 2 shown]
	v_fma_f64 v[84:85], v[26:27], s[18:19], v[24:25]
	v_add_f64 v[50:51], v[86:87], v[50:51]
	v_add_f64 v[48:49], v[48:49], v[82:83]
	v_fma_f64 v[24:25], v[26:27], s[18:19], -v[24:25]
	v_fma_f64 v[26:27], v[18:19], s[14:15], v[22:23]
	v_fma_f64 v[22:23], v[18:19], s[14:15], -v[22:23]
	v_fma_f64 v[82:83], v[18:19], s[18:19], v[78:79]
	;; [unrolled: 2-line block ×3, first 2 shown]
	v_add_f64 v[44:45], v[84:85], v[44:45]
	v_mul_f64 v[84:85], v[16:17], s[34:35]
	s_mov_b32 s37, 0x3fcea1e5
	s_mov_b32 s36, s30
	v_add_f64 v[38:39], v[90:91], v[38:39]
	v_add_f64 v[24:25], v[24:25], v[28:29]
	;; [unrolled: 1-line block ×7, first 2 shown]
	v_fma_f64 v[46:47], v[18:19], s[8:9], -v[80:81]
	v_fma_f64 v[50:51], v[18:19], s[6:7], v[84:85]
	v_mul_f64 v[76:77], v[16:17], s[36:37]
	v_add_f64 v[8:9], v[12:13], -v[8:9]
	s_mov_b32 s35, 0x3fea55e2
	s_mov_b32 s34, s24
	v_mul_f64 v[12:13], v[16:17], s[34:35]
	v_add_f64 v[10:11], v[10:11], v[14:15]
	v_add_f64 v[16:17], v[46:47], v[32:33]
	;; [unrolled: 1-line block ×3, first 2 shown]
	v_fma_f64 v[38:39], v[18:19], s[28:29], v[76:77]
	v_mul_f64 v[14:15], v[8:9], s[22:23]
	v_fma_f64 v[78:79], v[18:19], s[6:7], -v[84:85]
	v_fma_f64 v[46:47], v[18:19], s[28:29], -v[76:77]
	v_fma_f64 v[50:51], v[18:19], s[0:1], v[12:13]
	v_fma_f64 v[12:13], v[18:19], s[0:1], -v[12:13]
	v_mul_f64 v[76:77], v[8:9], s[26:27]
	v_add_f64 v[0:1], v[4:5], -v[0:1]
	v_add_f64 v[18:19], v[38:39], v[36:37]
	v_mul_f64 v[36:37], v[8:9], s[24:25]
	v_fma_f64 v[38:39], v[10:11], s[18:19], v[14:15]
	v_fma_f64 v[14:15], v[10:11], s[18:19], -v[14:15]
	v_add_f64 v[44:45], v[50:51], v[44:45]
	v_add_f64 v[12:13], v[12:13], v[24:25]
	v_fma_f64 v[24:25], v[10:11], s[6:7], -v[76:77]
	v_mul_f64 v[4:5], v[8:9], s[20:21]
	v_add_f64 v[2:3], v[2:3], v[6:7]
	v_fma_f64 v[50:51], v[10:11], s[0:1], v[36:37]
	v_add_f64 v[26:27], v[38:39], v[26:27]
	v_add_f64 v[14:15], v[14:15], v[22:23]
	v_fma_f64 v[22:23], v[10:11], s[0:1], -v[36:37]
	v_mul_f64 v[36:37], v[8:9], s[36:37]
	v_mul_f64 v[38:39], v[8:9], s[16:17]
	;; [unrolled: 1-line block ×3, first 2 shown]
	v_add_f64 v[20:21], v[78:79], v[20:21]
	v_add_f64 v[46:47], v[46:47], v[48:49]
	v_fma_f64 v[48:49], v[10:11], s[6:7], v[76:77]
	v_add_f64 v[24:25], v[24:25], v[30:31]
	v_add_f64 v[8:9], v[22:23], v[16:17]
	v_fma_f64 v[16:17], v[10:11], s[28:29], v[36:37]
	v_add_f64 v[30:31], v[50:51], v[42:43]
	v_fma_f64 v[22:23], v[10:11], s[28:29], -v[36:37]
	v_fma_f64 v[36:37], v[10:11], s[8:9], v[38:39]
	v_fma_f64 v[38:39], v[10:11], s[8:9], -v[38:39]
	v_fma_f64 v[42:43], v[10:11], s[14:15], v[4:5]
	v_fma_f64 v[4:5], v[10:11], s[14:15], -v[4:5]
	v_add_f64 v[28:29], v[48:49], v[28:29]
	v_add_f64 v[10:11], v[16:17], v[32:33]
	v_mul_f64 v[16:17], v[0:1], s[16:17]
	v_fma_f64 v[32:33], v[2:3], s[28:29], v[6:7]
	v_add_f64 v[20:21], v[22:23], v[20:21]
	v_add_f64 v[22:23], v[38:39], v[46:47]
	v_fma_f64 v[6:7], v[2:3], s[28:29], -v[6:7]
	v_add_f64 v[4:5], v[4:5], v[12:13]
	v_mul_f64 v[38:39], v[0:1], s[22:23]
	v_add_f64 v[18:19], v[36:37], v[18:19]
	v_fma_f64 v[12:13], v[2:3], s[8:9], v[16:17]
	v_fma_f64 v[16:17], v[2:3], s[8:9], -v[16:17]
	v_add_f64 v[36:37], v[42:43], v[44:45]
	v_mul_f64 v[42:43], v[0:1], s[34:35]
	v_add_f64 v[26:27], v[32:33], v[26:27]
	v_mul_f64 v[32:33], v[0:1], s[20:21]
	v_mul_f64 v[0:1], v[0:1], s[26:27]
	v_add_f64 v[6:7], v[6:7], v[14:15]
	v_add_f64 v[12:13], v[12:13], v[28:29]
	;; [unrolled: 1-line block ×3, first 2 shown]
	v_fma_f64 v[16:17], v[2:3], s[18:19], v[38:39]
	v_fma_f64 v[24:25], v[2:3], s[0:1], v[42:43]
	v_fma_f64 v[28:29], v[2:3], s[0:1], -v[42:43]
	v_fma_f64 v[42:43], v[2:3], s[14:15], v[32:33]
	v_fma_f64 v[44:45], v[2:3], s[6:7], v[0:1]
	v_fma_f64 v[0:1], v[2:3], s[6:7], -v[0:1]
	v_fma_f64 v[32:33], v[2:3], s[14:15], -v[32:33]
	v_fma_f64 v[2:3], v[2:3], s[18:19], -v[38:39]
	v_add_f64 v[16:17], v[16:17], v[30:31]
	v_add_f64 v[10:11], v[24:25], v[10:11]
	;; [unrolled: 1-line block ×8, first 2 shown]
	s_movk_i32 s0, 0x60
	v_mad_u32_u24 v8, v72, s0, v40
	ds_write2_b64 v8, v[34:35], v[26:27] offset1:1
	ds_write2_b64 v8, v[12:13], v[16:17] offset0:2 offset1:3
	ds_write2_b64 v8, v[10:11], v[18:19] offset0:4 offset1:5
	;; [unrolled: 1-line block ×5, first 2 shown]
	ds_write_b64 v8, v[6:7] offset:96
.LBB0_15:
	s_or_b64 exec, exec, s[2:3]
	s_movk_i32 s0, 0x4f
	v_mul_lo_u16_sdwa v23, v72, s0 dst_sel:DWORD dst_unused:UNUSED_PAD src0_sel:BYTE_0 src1_sel:DWORD
	v_add_u16_e32 v49, 0x68, v72
	v_lshrrev_b16_e32 v38, 10, v23
	v_mul_lo_u16_sdwa v50, v49, s0 dst_sel:DWORD dst_unused:UNUSED_PAD src0_sel:BYTE_0 src1_sel:DWORD
	v_mul_lo_u16_e32 v0, 13, v38
	v_lshrrev_b16_e32 v42, 10, v50
	v_sub_u16_e32 v39, v72, v0
	v_mov_b32_e32 v48, 4
	v_mul_lo_u16_e32 v1, 13, v42
	v_add_u32_e32 v25, 0xd0, v72
	v_lshlrev_b32_sdwa v0, v48, v39 dst_sel:DWORD dst_unused:UNUSED_PAD src0_sel:DWORD src1_sel:BYTE_0
	v_sub_u16_e32 v43, v49, v1
	s_movk_i32 s0, 0x4ec5
	s_load_dwordx2 s[2:3], s[4:5], 0x0
	s_waitcnt lgkmcnt(0)
	s_barrier
	v_lshlrev_b32_sdwa v1, v48, v43 dst_sel:DWORD dst_unused:UNUSED_PAD src0_sel:DWORD src1_sel:BYTE_0
	global_load_dwordx4 v[3:6], v0, s[12:13]
	global_load_dwordx4 v[7:10], v1, s[12:13]
	v_mul_u32_u24_sdwa v0, v25, s0 dst_sel:DWORD dst_unused:UNUSED_PAD src0_sel:WORD_0 src1_sel:DWORD
	v_lshrrev_b32_e32 v44, 18, v0
	v_add_u32_e32 v24, 0x138, v72
	v_mul_lo_u16_e32 v1, 13, v44
	v_sub_u16_e32 v45, v25, v1
	v_mul_u32_u24_sdwa v1, v24, s0 dst_sel:DWORD dst_unused:UNUSED_PAD src0_sel:WORD_0 src1_sel:DWORD
	v_lshrrev_b32_e32 v46, 18, v1
	v_mul_lo_u16_e32 v11, 13, v46
	v_lshlrev_b32_e32 v2, 4, v45
	v_sub_u16_e32 v47, v24, v11
	v_lshlrev_b32_e32 v19, 4, v47
	global_load_dwordx4 v[11:14], v2, s[12:13]
	global_load_dwordx4 v[15:18], v19, s[12:13]
	ds_read2_b64 v[19:22], v40 offset1:104
	ds_read2_b64 v[26:29], v41 offset0:32 offset1:136
	ds_read2_b64 v[30:33], v74 offset0:80 offset1:184
	ds_read2_b64 v[34:37], v75 offset0:112 offset1:216
	v_mov_b32_e32 v2, 3
	v_lshrrev_b16_e32 v51, 11, v23
	v_mul_u32_u24_e32 v23, 0xd0, v38
	v_mul_u32_u24_e32 v38, 0xd0, v42
	v_lshlrev_b32_sdwa v39, v2, v39 dst_sel:DWORD dst_unused:UNUSED_PAD src0_sel:DWORD src1_sel:BYTE_0
	v_lshlrev_b32_sdwa v43, v2, v43 dst_sel:DWORD dst_unused:UNUSED_PAD src0_sel:DWORD src1_sel:BYTE_0
	v_mul_u32_u24_e32 v42, 0xd0, v44
	v_mul_u32_u24_e32 v44, 0xd0, v46
	v_mul_lo_u16_e32 v46, 26, v51
	v_lshlrev_b32_e32 v45, 3, v45
	v_add3_u32 v82, 0, v23, v39
	v_add3_u32 v83, 0, v38, v43
	v_sub_u16_e32 v79, v72, v46
	v_lshlrev_b32_e32 v46, 3, v47
	v_add3_u32 v84, 0, v42, v45
	v_add3_u32 v85, 0, v44, v46
	v_lshrrev_b16_e32 v73, 11, v50
	v_lshrrev_b32_e32 v76, 19, v0
	v_mul_lo_u16_e32 v77, 26, v73
	v_mul_lo_u16_e32 v78, 26, v76
	v_sub_u16_e32 v77, v49, v77
	v_lshlrev_b32_sdwa v80, v48, v79 dst_sel:DWORD dst_unused:UNUSED_PAD src0_sel:DWORD src1_sel:BYTE_0
	s_waitcnt vmcnt(0) lgkmcnt(0)
	s_barrier
	v_lshlrev_b32_sdwa v81, v48, v77 dst_sel:DWORD dst_unused:UNUSED_PAD src0_sel:DWORD src1_sel:BYTE_0
	v_cmp_gt_u32_e64 s[0:1], 52, v72
	v_mul_f64 v[38:39], v[26:27], v[5:6]
	v_mul_f64 v[5:6], v[60:61], v[5:6]
	;; [unrolled: 1-line block ×4, first 2 shown]
	v_fma_f64 v[38:39], v[60:61], v[3:4], -v[38:39]
	v_fma_f64 v[3:4], v[26:27], v[3:4], v[5:6]
	v_fma_f64 v[42:43], v[62:63], v[7:8], -v[42:43]
	v_fma_f64 v[5:6], v[28:29], v[7:8], v[9:10]
	v_mul_f64 v[44:45], v[34:35], v[13:14]
	v_mul_f64 v[13:14], v[64:65], v[13:14]
	;; [unrolled: 1-line block ×4, first 2 shown]
	v_add_f64 v[26:27], v[19:20], -v[3:4]
	v_add_f64 v[28:29], v[21:22], -v[5:6]
	v_fma_f64 v[44:45], v[64:65], v[11:12], -v[44:45]
	v_fma_f64 v[7:8], v[34:35], v[11:12], v[13:14]
	v_fma_f64 v[46:47], v[66:67], v[15:16], -v[46:47]
	v_fma_f64 v[9:10], v[36:37], v[15:16], v[17:18]
	v_add_f64 v[11:12], v[52:53], -v[38:39]
	v_add_f64 v[13:14], v[54:55], -v[42:43]
	v_fma_f64 v[38:39], v[19:20], 2.0, -v[26:27]
	v_fma_f64 v[22:23], v[21:22], 2.0, -v[28:29]
	v_add_f64 v[15:16], v[56:57], -v[44:45]
	v_add_f64 v[34:35], v[30:31], -v[7:8]
	;; [unrolled: 1-line block ×4, first 2 shown]
	v_fma_f64 v[3:4], v[52:53], 2.0, -v[11:12]
	v_fma_f64 v[5:6], v[54:55], 2.0, -v[13:14]
	v_mul_u32_u24_e32 v46, 0x1a0, v51
	v_mul_u32_u24_e32 v47, 0x1a0, v73
	v_fma_f64 v[7:8], v[56:57], 2.0, -v[15:16]
	v_fma_f64 v[30:31], v[30:31], 2.0, -v[34:35]
	;; [unrolled: 1-line block ×4, first 2 shown]
	ds_write2_b64 v82, v[3:4], v[11:12] offset1:13
	ds_write2_b64 v83, v[5:6], v[13:14] offset1:13
	;; [unrolled: 1-line block ×4, first 2 shown]
	s_waitcnt lgkmcnt(0)
	s_barrier
	ds_read2_b64 v[3:6], v40 offset1:104
	ds_read2_b64 v[7:10], v41 offset0:32 offset1:136
	ds_read2_b64 v[11:14], v74 offset0:80 offset1:184
	;; [unrolled: 1-line block ×3, first 2 shown]
	s_waitcnt lgkmcnt(0)
	s_barrier
	ds_write2_b64 v82, v[38:39], v[26:27] offset1:13
	ds_write2_b64 v83, v[22:23], v[28:29] offset1:13
	;; [unrolled: 1-line block ×4, first 2 shown]
	v_lshrrev_b32_e32 v38, 19, v1
	s_waitcnt lgkmcnt(0)
	s_barrier
	global_load_dwordx4 v[26:29], v80, s[12:13] offset:208
	global_load_dwordx4 v[30:33], v81, s[12:13] offset:208
	v_sub_u16_e32 v15, v25, v78
	v_mul_lo_u16_e32 v17, 26, v38
	v_lshlrev_b32_e32 v16, 4, v15
	v_sub_u16_e32 v39, v24, v17
	v_lshlrev_b32_e32 v17, 4, v39
	global_load_dwordx4 v[34:37], v16, s[12:13] offset:208
	global_load_dwordx4 v[42:45], v17, s[12:13] offset:208
	v_lshrrev_b16_e32 v80, 12, v50
	v_lshrrev_b32_e32 v81, 20, v0
	v_lshrrev_b32_e32 v82, 20, v1
	v_mul_lo_u16_e32 v51, 52, v80
	v_mul_u32_u24_e32 v50, 0x1a0, v76
	v_mul_lo_u16_e32 v52, 52, v81
	v_mul_lo_u16_e32 v53, 52, v82
	v_sub_u16_e32 v76, v49, v51
	v_lshlrev_b32_sdwa v49, v2, v79 dst_sel:DWORD dst_unused:UNUSED_PAD src0_sel:DWORD src1_sel:BYTE_0
	v_lshlrev_b32_sdwa v51, v2, v77 dst_sel:DWORD dst_unused:UNUSED_PAD src0_sel:DWORD src1_sel:BYTE_0
	v_lshlrev_b32_e32 v15, 3, v15
	v_sub_u16_e32 v83, v25, v52
	v_sub_u16_e32 v84, v24, v53
	v_lshlrev_b32_sdwa v73, v48, v76 dst_sel:DWORD dst_unused:UNUSED_PAD src0_sel:DWORD src1_sel:BYTE_0
	v_add3_u32 v85, 0, v46, v49
	v_add3_u32 v86, 0, v47, v51
	;; [unrolled: 1-line block ×3, first 2 shown]
	ds_read2_b64 v[46:49], v40 offset1:104
	ds_read2_b64 v[50:53], v41 offset0:32 offset1:136
	ds_read2_b64 v[54:57], v74 offset0:80 offset1:184
	;; [unrolled: 1-line block ×3, first 2 shown]
	v_mul_u32_u24_e32 v38, 0x1a0, v38
	v_lshlrev_b32_e32 v39, 3, v39
	v_add3_u32 v87, 0, v38, v39
	v_subrev_u32_e32 v16, 52, v72
	v_mov_b32_e32 v17, 0
	v_cndmask_b32_e64 v16, v16, v72, s[0:1]
	v_lshlrev_b64 v[22:23], 4, v[16:17]
	v_mov_b32_e32 v78, s13
	v_add_co_u32_e64 v22, s[0:1], s12, v22
	v_addc_co_u32_e64 v23, s[0:1], v78, v23, s[0:1]
	v_lshlrev_b32_e32 v77, 4, v83
	v_lshlrev_b32_e32 v79, 4, v84
	s_waitcnt vmcnt(0) lgkmcnt(0)
	s_barrier
	v_cmp_lt_u32_e64 s[0:1], 51, v72
	v_lshrrev_b32_e32 v0, 21, v0
	v_lshrrev_b32_e32 v1, 21, v1
	v_lshlrev_b32_e32 v16, 3, v16
	v_mul_lo_u16_e32 v0, 0x68, v0
	v_mul_lo_u16_e32 v1, 0x68, v1
	v_mul_f64 v[38:39], v[50:51], v[28:29]
	v_mul_f64 v[28:29], v[7:8], v[28:29]
	;; [unrolled: 1-line block ×8, first 2 shown]
	v_fma_f64 v[7:8], v[7:8], v[26:27], -v[38:39]
	v_fma_f64 v[26:27], v[50:51], v[26:27], v[28:29]
	v_fma_f64 v[9:10], v[9:10], v[30:31], -v[62:63]
	v_fma_f64 v[28:29], v[52:53], v[30:31], v[32:33]
	;; [unrolled: 2-line block ×4, first 2 shown]
	v_add_f64 v[7:8], v[3:4], -v[7:8]
	v_add_f64 v[34:35], v[46:47], -v[26:27]
	;; [unrolled: 1-line block ×8, first 2 shown]
	v_fma_f64 v[3:4], v[3:4], 2.0, -v[7:8]
	v_fma_f64 v[38:39], v[46:47], 2.0, -v[34:35]
	;; [unrolled: 1-line block ×8, first 2 shown]
	ds_write2_b64 v85, v[3:4], v[7:8] offset1:26
	ds_write2_b64 v86, v[5:6], v[9:10] offset1:26
	ds_write2_b64 v15, v[11:12], v[18:19] offset1:26
	ds_write2_b64 v87, v[13:14], v[20:21] offset1:26
	s_waitcnt lgkmcnt(0)
	s_barrier
	ds_read2_b64 v[3:6], v40 offset1:104
	ds_read2_b64 v[7:10], v41 offset0:32 offset1:136
	ds_read2_b64 v[11:14], v74 offset0:80 offset1:184
	;; [unrolled: 1-line block ×3, first 2 shown]
	s_waitcnt lgkmcnt(0)
	s_barrier
	ds_write2_b64 v85, v[38:39], v[34:35] offset1:26
	ds_write2_b64 v86, v[42:43], v[36:37] offset1:26
	;; [unrolled: 1-line block ×4, first 2 shown]
	s_waitcnt lgkmcnt(0)
	s_barrier
	global_load_dwordx4 v[30:33], v[22:23], off offset:624
	global_load_dwordx4 v[34:37], v73, s[12:13] offset:624
	global_load_dwordx4 v[42:45], v77, s[12:13] offset:624
	;; [unrolled: 1-line block ×3, first 2 shown]
	ds_read2_b64 v[50:53], v40 offset1:104
	ds_read2_b64 v[54:57], v41 offset0:32 offset1:136
	ds_read2_b64 v[58:61], v74 offset0:80 offset1:184
	;; [unrolled: 1-line block ×3, first 2 shown]
	v_mov_b32_e32 v73, v17
	v_mov_b32_e32 v15, 0x340
	v_lshlrev_b64 v[18:19], 4, v[72:73]
	v_cndmask_b32_e64 v15, 0, v15, s[0:1]
	v_add3_u32 v66, 0, v15, v16
	v_mul_u32_u24_e32 v15, 0x340, v80
	v_mul_u32_u24_e32 v16, 0x340, v81
	;; [unrolled: 1-line block ×3, first 2 shown]
	v_add_co_u32_e64 v20, s[0:1], s12, v18
	v_sub_u16_e32 v67, v25, v0
	v_sub_u16_e32 v72, v24, v1
	v_lshlrev_b32_sdwa v0, v2, v76 dst_sel:DWORD dst_unused:UNUSED_PAD src0_sel:DWORD src1_sel:BYTE_0
	v_lshlrev_b32_e32 v1, 3, v83
	v_lshlrev_b32_e32 v2, 3, v84
	v_addc_co_u32_e64 v21, s[0:1], v78, v19, s[0:1]
	v_add3_u32 v76, 0, v15, v0
	v_add3_u32 v77, 0, v16, v1
	;; [unrolled: 1-line block ×3, first 2 shown]
	s_waitcnt vmcnt(0) lgkmcnt(0)
	s_barrier
	v_lshlrev_b32_e32 v73, 4, v67
	s_movk_i32 s0, 0x680
	v_mul_f64 v[0:1], v[54:55], v[32:33]
	v_mul_f64 v[15:16], v[56:57], v[36:37]
	;; [unrolled: 1-line block ×8, first 2 shown]
	v_fma_f64 v[0:1], v[7:8], v[30:31], -v[0:1]
	v_fma_f64 v[7:8], v[9:10], v[34:35], -v[15:16]
	;; [unrolled: 1-line block ×3, first 2 shown]
	v_fma_f64 v[22:23], v[54:55], v[30:31], v[32:33]
	v_fma_f64 v[26:27], v[56:57], v[34:35], v[36:37]
	v_fma_f64 v[15:16], v[28:29], v[46:47], -v[38:39]
	v_fma_f64 v[28:29], v[62:63], v[42:43], v[44:45]
	v_fma_f64 v[30:31], v[64:65], v[46:47], v[48:49]
	v_add_f64 v[0:1], v[3:4], -v[0:1]
	v_add_f64 v[7:8], v[5:6], -v[7:8]
	;; [unrolled: 1-line block ×8, first 2 shown]
	v_fma_f64 v[2:3], v[3:4], 2.0, -v[0:1]
	v_fma_f64 v[4:5], v[5:6], 2.0, -v[7:8]
	;; [unrolled: 1-line block ×8, first 2 shown]
	ds_write2_b64 v66, v[2:3], v[0:1] offset1:52
	ds_write2_b64 v76, v[4:5], v[7:8] offset1:52
	;; [unrolled: 1-line block ×4, first 2 shown]
	s_waitcnt lgkmcnt(0)
	s_barrier
	ds_read2_b64 v[0:3], v40 offset1:104
	ds_read2_b64 v[4:7], v41 offset0:32 offset1:136
	ds_read2_b64 v[8:11], v74 offset0:80 offset1:184
	;; [unrolled: 1-line block ×3, first 2 shown]
	s_waitcnt lgkmcnt(0)
	s_barrier
	ds_write2_b64 v66, v[32:33], v[22:23] offset1:52
	ds_write2_b64 v76, v[34:35], v[26:27] offset1:52
	;; [unrolled: 1-line block ×4, first 2 shown]
	s_waitcnt lgkmcnt(0)
	s_barrier
	global_load_dwordx4 v[26:29], v[20:21], off offset:1456
	v_lshlrev_b32_e32 v16, 4, v72
	global_load_dwordx4 v[30:33], v73, s[12:13] offset:1456
	global_load_dwordx4 v[34:37], v16, s[12:13] offset:1456
	ds_read2_b64 v[42:45], v40 offset1:104
	ds_read2_b64 v[46:49], v41 offset0:32 offset1:136
	ds_read2_b64 v[50:53], v74 offset0:80 offset1:184
	;; [unrolled: 1-line block ×3, first 2 shown]
	v_lshl_add_u32 v38, v72, 3, 0
	v_add_u32_e32 v66, 0x1000, v38
	v_lshl_add_u32 v16, v67, 3, 0
	v_add_co_u32_e64 v22, s[0:1], s0, v20
	v_addc_co_u32_e64 v23, s[0:1], 0, v21, s[0:1]
	v_add_u32_e32 v16, 0xc00, v16
	s_waitcnt vmcnt(0) lgkmcnt(0)
	s_barrier
	s_movk_i32 s0, 0x1a0
	v_mul_f64 v[38:39], v[46:47], v[28:29]
	v_mul_f64 v[64:65], v[4:5], v[28:29]
	;; [unrolled: 1-line block ×8, first 2 shown]
	v_fma_f64 v[4:5], v[4:5], v[26:27], -v[38:39]
	v_fma_f64 v[38:39], v[46:47], v[26:27], v[64:65]
	v_fma_f64 v[6:7], v[6:7], v[26:27], -v[58:59]
	v_fma_f64 v[26:27], v[48:49], v[26:27], v[28:29]
	;; [unrolled: 2-line block ×4, first 2 shown]
	v_add_f64 v[4:5], v[0:1], -v[4:5]
	v_add_f64 v[32:33], v[42:43], -v[38:39]
	;; [unrolled: 1-line block ×8, first 2 shown]
	v_fma_f64 v[0:1], v[0:1], 2.0, -v[4:5]
	v_fma_f64 v[34:35], v[42:43], 2.0, -v[32:33]
	;; [unrolled: 1-line block ×8, first 2 shown]
	ds_write2_b64 v40, v[0:1], v[4:5] offset1:104
	ds_write2_b64 v74, v[2:3], v[6:7] offset0:80 offset1:184
	ds_write2_b64 v16, v[8:9], v[12:13] offset0:32 offset1:136
	;; [unrolled: 1-line block ×3, first 2 shown]
	s_waitcnt lgkmcnt(0)
	s_barrier
	ds_read2_b64 v[0:3], v40 offset1:104
	ds_read2_b64 v[4:7], v41 offset0:32 offset1:136
	ds_read2_b64 v[8:11], v74 offset0:80 offset1:184
	;; [unrolled: 1-line block ×3, first 2 shown]
	s_waitcnt lgkmcnt(0)
	s_barrier
	ds_write2_b64 v40, v[34:35], v[32:33] offset1:104
	ds_write2_b64 v74, v[36:37], v[26:27] offset0:80 offset1:184
	ds_write2_b64 v16, v[38:39], v[28:29] offset0:32 offset1:136
	;; [unrolled: 1-line block ×3, first 2 shown]
	s_waitcnt lgkmcnt(0)
	s_barrier
	global_load_dwordx4 v[26:29], v[20:21], off offset:3120
	global_load_dwordx4 v[30:33], v[22:23], off offset:3120
	ds_read2_b64 v[34:37], v40 offset1:104
	ds_read2_b64 v[42:45], v41 offset0:32 offset1:136
	ds_read2_b64 v[46:49], v74 offset0:80 offset1:184
	;; [unrolled: 1-line block ×3, first 2 shown]
	s_waitcnt vmcnt(0) lgkmcnt(0)
	s_barrier
	v_mul_f64 v[38:39], v[42:43], v[28:29]
	v_mul_f64 v[54:55], v[44:45], v[32:33]
	;; [unrolled: 1-line block ×8, first 2 shown]
	v_fma_f64 v[4:5], v[4:5], v[26:27], -v[38:39]
	v_fma_f64 v[6:7], v[6:7], v[30:31], -v[54:55]
	v_fma_f64 v[12:13], v[12:13], v[26:27], -v[56:57]
	v_fma_f64 v[14:15], v[14:15], v[30:31], -v[58:59]
	v_fma_f64 v[38:39], v[42:43], v[26:27], v[60:61]
	v_fma_f64 v[42:43], v[44:45], v[30:31], v[62:63]
	;; [unrolled: 1-line block ×4, first 2 shown]
	v_add_f64 v[4:5], v[0:1], -v[4:5]
	v_add_f64 v[6:7], v[2:3], -v[6:7]
	;; [unrolled: 1-line block ×8, first 2 shown]
	v_fma_f64 v[0:1], v[0:1], 2.0, -v[4:5]
	v_fma_f64 v[2:3], v[2:3], 2.0, -v[6:7]
	;; [unrolled: 1-line block ×6, first 2 shown]
	ds_write2_b64 v74, v[4:5], v[6:7] offset0:80 offset1:184
	ds_write2_b64 v75, v[12:13], v[14:15] offset0:112 offset1:216
	ds_write2_b64 v40, v[0:1], v[2:3] offset1:104
	ds_write2_b64 v41, v[8:9], v[10:11] offset0:32 offset1:136
	s_waitcnt lgkmcnt(0)
	s_barrier
	ds_read2_b64 v[0:3], v40 offset1:104
	ds_read2_b64 v[8:11], v41 offset0:32 offset1:136
	ds_read2_b64 v[4:7], v74 offset0:80 offset1:184
	;; [unrolled: 1-line block ×3, first 2 shown]
	v_fma_f64 v[38:39], v[46:47], 2.0, -v[26:27]
	v_fma_f64 v[42:43], v[48:49], 2.0, -v[28:29]
	s_waitcnt lgkmcnt(0)
	s_barrier
	ds_write2_b64 v40, v[34:35], v[36:37] offset1:104
	ds_write2_b64 v74, v[30:31], v[32:33] offset0:80 offset1:184
	ds_write2_b64 v41, v[38:39], v[42:43] offset0:32 offset1:136
	;; [unrolled: 1-line block ×3, first 2 shown]
	s_waitcnt lgkmcnt(0)
	s_barrier
	s_and_saveexec_b64 s[4:5], vcc
	s_cbranch_execz .LBB0_17
; %bb.16:
	v_add_co_u32_e32 v34, vcc, 0x2000, v20
	s_movk_i32 s1, 0x1000
	v_addc_co_u32_e32 v35, vcc, 0, v21, vcc
	v_add_co_u32_e32 v38, vcc, s1, v22
	v_addc_co_u32_e32 v39, vcc, 0, v23, vcc
	v_add_co_u32_e32 v41, vcc, s1, v20
	global_load_dwordx4 v[26:29], v[34:35], off offset:3248
	global_load_dwordx4 v[30:33], v[34:35], off offset:1584
	v_addc_co_u32_e32 v42, vcc, 0, v21, vcc
	global_load_dwordx4 v[20:23], v[38:39], off offset:2352
	global_load_dwordx4 v[34:37], v[41:42], off offset:2352
	v_mul_lo_u32 v16, s3, v70
	v_mul_lo_u32 v59, s2, v71
	v_mad_u64_u32 v[38:39], s[2:3], s2, v70, 0
	v_add_u32_e32 v45, 0x400, v40
	v_add_u32_e32 v49, 0x1000, v40
	ds_read2_b64 v[41:44], v40 offset1:104
	v_add_u32_e32 v40, 0xc00, v40
	s_mov_b32 s3, 0x4ec4ec4f
	ds_read2_b64 v[45:48], v45 offset0:80 offset1:184
	ds_read2_b64 v[49:52], v49 offset0:112 offset1:216
	ds_read2_b64 v[53:56], v40 offset0:32 offset1:136
	v_mul_hi_u32 v25, v25, s3
	v_mul_hi_u32 v40, v24, s3
	v_add3_u32 v39, v39, v59, v16
	v_lshlrev_b64 v[38:39], 4, v[38:39]
	v_mov_b32_e32 v60, s11
	v_lshlrev_b64 v[57:58], 4, v[68:69]
	v_lshrrev_b32_e32 v16, 7, v25
	v_lshrrev_b32_e32 v25, 7, v40
	v_add_co_u32_e32 v40, vcc, s10, v38
	v_mul_u32_u24_e32 v16, 0x1a0, v16
	v_addc_co_u32_e32 v59, vcc, v60, v39, vcc
	v_lshlrev_b64 v[38:39], 4, v[16:17]
	v_mad_u32_u24 v16, v25, s0, v24
	v_add_co_u32_e32 v24, vcc, v40, v57
	v_addc_co_u32_e32 v25, vcc, v59, v58, vcc
	v_add_co_u32_e32 v57, vcc, v24, v18
	v_addc_co_u32_e32 v58, vcc, v25, v19, vcc
	v_add_co_u32_e32 v59, vcc, s1, v57
	s_movk_i32 s2, 0x2000
	v_addc_co_u32_e32 v60, vcc, 0, v58, vcc
	v_add_co_u32_e32 v61, vcc, s2, v57
	v_addc_co_u32_e32 v62, vcc, 0, v58, vcc
	v_lshlrev_b64 v[16:17], 4, v[16:17]
	v_add_co_u32_e32 v38, vcc, v57, v38
	v_addc_co_u32_e32 v39, vcc, v58, v39, vcc
	v_add_co_u32_e32 v63, vcc, v24, v16
	v_addc_co_u32_e32 v64, vcc, v25, v17, vcc
	v_add_co_u32_e32 v40, vcc, s2, v38
	s_waitcnt vmcnt(3)
	v_mul_f64 v[16:17], v[14:15], v[28:29]
	s_waitcnt lgkmcnt(1)
	v_mul_f64 v[18:19], v[51:52], v[28:29]
	s_waitcnt vmcnt(2)
	v_mul_f64 v[28:29], v[49:50], v[32:33]
	v_mul_f64 v[24:25], v[12:13], v[32:33]
	s_waitcnt vmcnt(0)
	v_mul_f64 v[65:66], v[8:9], v[36:37]
	s_waitcnt lgkmcnt(0)
	v_mul_f64 v[36:37], v[53:54], v[36:37]
	v_mul_f64 v[32:33], v[10:11], v[22:23]
	;; [unrolled: 1-line block ×3, first 2 shown]
	v_fma_f64 v[16:17], v[51:52], v[26:27], v[16:17]
	v_fma_f64 v[14:15], v[14:15], v[26:27], -v[18:19]
	v_fma_f64 v[12:13], v[12:13], v[30:31], -v[28:29]
	v_fma_f64 v[18:19], v[49:50], v[30:31], v[24:25]
	v_fma_f64 v[26:27], v[53:54], v[34:35], v[65:66]
	v_fma_f64 v[28:29], v[8:9], v[34:35], -v[36:37]
	v_fma_f64 v[24:25], v[55:56], v[20:21], v[32:33]
	v_fma_f64 v[30:31], v[10:11], v[20:21], -v[22:23]
	v_add_f64 v[10:11], v[47:48], -v[16:17]
	v_add_f64 v[8:9], v[6:7], -v[14:15]
	;; [unrolled: 1-line block ×8, first 2 shown]
	v_fma_f64 v[26:27], v[47:48], 2.0, -v[10:11]
	v_fma_f64 v[24:25], v[6:7], 2.0, -v[8:9]
	;; [unrolled: 1-line block ×8, first 2 shown]
	v_addc_co_u32_e32 v41, vcc, 0, v39, vcc
	v_add_co_u32_e32 v0, vcc, 0x1000, v63
	v_addc_co_u32_e32 v1, vcc, 0, v64, vcc
	global_store_dwordx4 v[59:60], v[20:23], off offset:2560
	global_store_dwordx4 v[61:62], v[16:19], off offset:128
	;; [unrolled: 1-line block ×3, first 2 shown]
	global_store_dwordx4 v[57:58], v[32:35], off
	global_store_dwordx4 v[57:58], v[28:31], off offset:1664
	global_store_dwordx4 v[38:39], v[4:7], off offset:3328
	global_store_dwordx4 v[63:64], v[24:27], off
	global_store_dwordx4 v[0:1], v[8:11], off offset:2560
.LBB0_17:
	s_endpgm
	.section	.rodata,"a",@progbits
	.p2align	6, 0x0
	.amdhsa_kernel fft_rtc_fwd_len832_factors_13_2_2_2_2_2_2_wgs_104_tpt_104_halfLds_dp_op_CI_CI_unitstride_sbrr_dirReg
		.amdhsa_group_segment_fixed_size 0
		.amdhsa_private_segment_fixed_size 0
		.amdhsa_kernarg_size 104
		.amdhsa_user_sgpr_count 6
		.amdhsa_user_sgpr_private_segment_buffer 1
		.amdhsa_user_sgpr_dispatch_ptr 0
		.amdhsa_user_sgpr_queue_ptr 0
		.amdhsa_user_sgpr_kernarg_segment_ptr 1
		.amdhsa_user_sgpr_dispatch_id 0
		.amdhsa_user_sgpr_flat_scratch_init 0
		.amdhsa_user_sgpr_private_segment_size 0
		.amdhsa_uses_dynamic_stack 0
		.amdhsa_system_sgpr_private_segment_wavefront_offset 0
		.amdhsa_system_sgpr_workgroup_id_x 1
		.amdhsa_system_sgpr_workgroup_id_y 0
		.amdhsa_system_sgpr_workgroup_id_z 0
		.amdhsa_system_sgpr_workgroup_info 0
		.amdhsa_system_vgpr_workitem_id 0
		.amdhsa_next_free_vgpr 121
		.amdhsa_next_free_sgpr 42
		.amdhsa_reserve_vcc 1
		.amdhsa_reserve_flat_scratch 0
		.amdhsa_float_round_mode_32 0
		.amdhsa_float_round_mode_16_64 0
		.amdhsa_float_denorm_mode_32 3
		.amdhsa_float_denorm_mode_16_64 3
		.amdhsa_dx10_clamp 1
		.amdhsa_ieee_mode 1
		.amdhsa_fp16_overflow 0
		.amdhsa_exception_fp_ieee_invalid_op 0
		.amdhsa_exception_fp_denorm_src 0
		.amdhsa_exception_fp_ieee_div_zero 0
		.amdhsa_exception_fp_ieee_overflow 0
		.amdhsa_exception_fp_ieee_underflow 0
		.amdhsa_exception_fp_ieee_inexact 0
		.amdhsa_exception_int_div_zero 0
	.end_amdhsa_kernel
	.text
.Lfunc_end0:
	.size	fft_rtc_fwd_len832_factors_13_2_2_2_2_2_2_wgs_104_tpt_104_halfLds_dp_op_CI_CI_unitstride_sbrr_dirReg, .Lfunc_end0-fft_rtc_fwd_len832_factors_13_2_2_2_2_2_2_wgs_104_tpt_104_halfLds_dp_op_CI_CI_unitstride_sbrr_dirReg
                                        ; -- End function
	.section	.AMDGPU.csdata,"",@progbits
; Kernel info:
; codeLenInByte = 9376
; NumSgprs: 46
; NumVgprs: 121
; ScratchSize: 0
; MemoryBound: 1
; FloatMode: 240
; IeeeMode: 1
; LDSByteSize: 0 bytes/workgroup (compile time only)
; SGPRBlocks: 5
; VGPRBlocks: 30
; NumSGPRsForWavesPerEU: 46
; NumVGPRsForWavesPerEU: 121
; Occupancy: 2
; WaveLimiterHint : 1
; COMPUTE_PGM_RSRC2:SCRATCH_EN: 0
; COMPUTE_PGM_RSRC2:USER_SGPR: 6
; COMPUTE_PGM_RSRC2:TRAP_HANDLER: 0
; COMPUTE_PGM_RSRC2:TGID_X_EN: 1
; COMPUTE_PGM_RSRC2:TGID_Y_EN: 0
; COMPUTE_PGM_RSRC2:TGID_Z_EN: 0
; COMPUTE_PGM_RSRC2:TIDIG_COMP_CNT: 0
	.type	__hip_cuid_fe28ed9cfbe0c502,@object ; @__hip_cuid_fe28ed9cfbe0c502
	.section	.bss,"aw",@nobits
	.globl	__hip_cuid_fe28ed9cfbe0c502
__hip_cuid_fe28ed9cfbe0c502:
	.byte	0                               ; 0x0
	.size	__hip_cuid_fe28ed9cfbe0c502, 1

	.ident	"AMD clang version 19.0.0git (https://github.com/RadeonOpenCompute/llvm-project roc-6.4.0 25133 c7fe45cf4b819c5991fe208aaa96edf142730f1d)"
	.section	".note.GNU-stack","",@progbits
	.addrsig
	.addrsig_sym __hip_cuid_fe28ed9cfbe0c502
	.amdgpu_metadata
---
amdhsa.kernels:
  - .args:
      - .actual_access:  read_only
        .address_space:  global
        .offset:         0
        .size:           8
        .value_kind:     global_buffer
      - .offset:         8
        .size:           8
        .value_kind:     by_value
      - .actual_access:  read_only
        .address_space:  global
        .offset:         16
        .size:           8
        .value_kind:     global_buffer
      - .actual_access:  read_only
        .address_space:  global
        .offset:         24
        .size:           8
        .value_kind:     global_buffer
      - .actual_access:  read_only
        .address_space:  global
        .offset:         32
        .size:           8
        .value_kind:     global_buffer
      - .offset:         40
        .size:           8
        .value_kind:     by_value
      - .actual_access:  read_only
        .address_space:  global
        .offset:         48
        .size:           8
        .value_kind:     global_buffer
      - .actual_access:  read_only
        .address_space:  global
        .offset:         56
        .size:           8
        .value_kind:     global_buffer
      - .offset:         64
        .size:           4
        .value_kind:     by_value
      - .actual_access:  read_only
        .address_space:  global
        .offset:         72
        .size:           8
        .value_kind:     global_buffer
      - .actual_access:  read_only
        .address_space:  global
        .offset:         80
        .size:           8
        .value_kind:     global_buffer
      - .actual_access:  read_only
        .address_space:  global
        .offset:         88
        .size:           8
        .value_kind:     global_buffer
      - .actual_access:  write_only
        .address_space:  global
        .offset:         96
        .size:           8
        .value_kind:     global_buffer
    .group_segment_fixed_size: 0
    .kernarg_segment_align: 8
    .kernarg_segment_size: 104
    .language:       OpenCL C
    .language_version:
      - 2
      - 0
    .max_flat_workgroup_size: 104
    .name:           fft_rtc_fwd_len832_factors_13_2_2_2_2_2_2_wgs_104_tpt_104_halfLds_dp_op_CI_CI_unitstride_sbrr_dirReg
    .private_segment_fixed_size: 0
    .sgpr_count:     46
    .sgpr_spill_count: 0
    .symbol:         fft_rtc_fwd_len832_factors_13_2_2_2_2_2_2_wgs_104_tpt_104_halfLds_dp_op_CI_CI_unitstride_sbrr_dirReg.kd
    .uniform_work_group_size: 1
    .uses_dynamic_stack: false
    .vgpr_count:     121
    .vgpr_spill_count: 0
    .wavefront_size: 64
amdhsa.target:   amdgcn-amd-amdhsa--gfx906
amdhsa.version:
  - 1
  - 2
...

	.end_amdgpu_metadata
